;; amdgpu-corpus repo=ROCm/rocFFT kind=compiled arch=gfx950 opt=O3
	.text
	.amdgcn_target "amdgcn-amd-amdhsa--gfx950"
	.amdhsa_code_object_version 6
	.protected	fft_rtc_back_len350_factors_5_7_10_wgs_50_tpt_50_sp_op_CI_CI_unitstride_sbrr_R2C_dirReg ; -- Begin function fft_rtc_back_len350_factors_5_7_10_wgs_50_tpt_50_sp_op_CI_CI_unitstride_sbrr_R2C_dirReg
	.globl	fft_rtc_back_len350_factors_5_7_10_wgs_50_tpt_50_sp_op_CI_CI_unitstride_sbrr_R2C_dirReg
	.p2align	8
	.type	fft_rtc_back_len350_factors_5_7_10_wgs_50_tpt_50_sp_op_CI_CI_unitstride_sbrr_R2C_dirReg,@function
fft_rtc_back_len350_factors_5_7_10_wgs_50_tpt_50_sp_op_CI_CI_unitstride_sbrr_R2C_dirReg: ; @fft_rtc_back_len350_factors_5_7_10_wgs_50_tpt_50_sp_op_CI_CI_unitstride_sbrr_R2C_dirReg
; %bb.0:
	s_load_dwordx4 s[4:7], s[0:1], 0x58
	s_load_dwordx4 s[8:11], s[0:1], 0x0
	;; [unrolled: 1-line block ×3, first 2 shown]
	v_mul_u32_u24_e32 v1, 0x51f, v0
	v_add_u32_sdwa v6, s2, v1 dst_sel:DWORD dst_unused:UNUSED_PAD src0_sel:DWORD src1_sel:WORD_1
	v_mov_b32_e32 v4, 0
	s_waitcnt lgkmcnt(0)
	v_cmp_lt_u64_e64 s[2:3], s[10:11], 2
	v_mov_b32_e32 v7, v4
	s_and_b64 vcc, exec, s[2:3]
	v_mov_b64_e32 v[2:3], 0
	s_cbranch_vccnz .LBB0_8
; %bb.1:
	s_load_dwordx2 s[2:3], s[0:1], 0x10
	s_add_u32 s16, s14, 8
	s_addc_u32 s17, s15, 0
	s_add_u32 s18, s12, 8
	s_addc_u32 s19, s13, 0
	s_waitcnt lgkmcnt(0)
	s_add_u32 s20, s2, 8
	v_mov_b64_e32 v[2:3], 0
	s_addc_u32 s21, s3, 0
	s_mov_b64 s[22:23], 1
	v_mov_b64_e32 v[24:25], v[2:3]
.LBB0_2:                                ; =>This Inner Loop Header: Depth=1
	s_load_dwordx2 s[24:25], s[20:21], 0x0
                                        ; implicit-def: $vgpr26_vgpr27
	s_waitcnt lgkmcnt(0)
	v_or_b32_e32 v5, s25, v7
	v_cmp_ne_u64_e32 vcc, 0, v[4:5]
	s_and_saveexec_b64 s[2:3], vcc
	s_xor_b64 s[26:27], exec, s[2:3]
	s_cbranch_execz .LBB0_4
; %bb.3:                                ;   in Loop: Header=BB0_2 Depth=1
	v_cvt_f32_u32_e32 v1, s24
	v_cvt_f32_u32_e32 v5, s25
	s_sub_u32 s2, 0, s24
	s_subb_u32 s3, 0, s25
	v_fmac_f32_e32 v1, 0x4f800000, v5
	v_rcp_f32_e32 v1, v1
	s_nop 0
	v_mul_f32_e32 v1, 0x5f7ffffc, v1
	v_mul_f32_e32 v5, 0x2f800000, v1
	v_trunc_f32_e32 v5, v5
	v_fmac_f32_e32 v1, 0xcf800000, v5
	v_cvt_u32_f32_e32 v5, v5
	v_cvt_u32_f32_e32 v1, v1
	v_mul_lo_u32 v8, s2, v5
	v_mul_hi_u32 v10, s2, v1
	v_mul_lo_u32 v9, s3, v1
	v_add_u32_e32 v10, v10, v8
	v_mul_lo_u32 v12, s2, v1
	v_add_u32_e32 v13, v10, v9
	v_mul_hi_u32 v8, v1, v12
	v_mul_hi_u32 v11, v1, v13
	v_mul_lo_u32 v10, v1, v13
	v_mov_b32_e32 v9, v4
	v_lshl_add_u64 v[8:9], v[8:9], 0, v[10:11]
	v_mul_hi_u32 v11, v5, v12
	v_mul_lo_u32 v12, v5, v12
	v_add_co_u32_e32 v8, vcc, v8, v12
	v_mul_hi_u32 v10, v5, v13
	s_nop 0
	v_addc_co_u32_e32 v8, vcc, v9, v11, vcc
	v_mov_b32_e32 v9, v4
	s_nop 0
	v_addc_co_u32_e32 v11, vcc, 0, v10, vcc
	v_mul_lo_u32 v10, v5, v13
	v_lshl_add_u64 v[8:9], v[8:9], 0, v[10:11]
	v_add_co_u32_e32 v1, vcc, v1, v8
	v_mul_lo_u32 v10, s2, v1
	s_nop 0
	v_addc_co_u32_e32 v5, vcc, v5, v9, vcc
	v_mul_lo_u32 v8, s2, v5
	v_mul_hi_u32 v9, s2, v1
	v_add_u32_e32 v8, v9, v8
	v_mul_lo_u32 v9, s3, v1
	v_add_u32_e32 v12, v8, v9
	v_mul_hi_u32 v14, v5, v10
	v_mul_lo_u32 v15, v5, v10
	v_mul_hi_u32 v9, v1, v12
	v_mul_lo_u32 v8, v1, v12
	v_mul_hi_u32 v10, v1, v10
	v_mov_b32_e32 v11, v4
	v_lshl_add_u64 v[8:9], v[10:11], 0, v[8:9]
	v_add_co_u32_e32 v8, vcc, v8, v15
	v_mul_hi_u32 v13, v5, v12
	s_nop 0
	v_addc_co_u32_e32 v8, vcc, v9, v14, vcc
	v_mul_lo_u32 v10, v5, v12
	s_nop 0
	v_addc_co_u32_e32 v11, vcc, 0, v13, vcc
	v_mov_b32_e32 v9, v4
	v_lshl_add_u64 v[8:9], v[8:9], 0, v[10:11]
	v_add_co_u32_e32 v1, vcc, v1, v8
	v_mul_hi_u32 v10, v6, v1
	s_nop 0
	v_addc_co_u32_e32 v5, vcc, v5, v9, vcc
	v_mad_u64_u32 v[8:9], s[2:3], v6, v5, 0
	v_mov_b32_e32 v11, v4
	v_lshl_add_u64 v[8:9], v[10:11], 0, v[8:9]
	v_mad_u64_u32 v[12:13], s[2:3], v7, v1, 0
	v_add_co_u32_e32 v1, vcc, v8, v12
	v_mad_u64_u32 v[10:11], s[2:3], v7, v5, 0
	s_nop 0
	v_addc_co_u32_e32 v8, vcc, v9, v13, vcc
	v_mov_b32_e32 v9, v4
	s_nop 0
	v_addc_co_u32_e32 v11, vcc, 0, v11, vcc
	v_lshl_add_u64 v[8:9], v[8:9], 0, v[10:11]
	v_mul_lo_u32 v1, s25, v8
	v_mul_lo_u32 v5, s24, v9
	v_mad_u64_u32 v[10:11], s[2:3], s24, v8, 0
	v_add3_u32 v1, v11, v5, v1
	v_sub_u32_e32 v5, v7, v1
	v_mov_b32_e32 v11, s25
	v_sub_co_u32_e32 v14, vcc, v6, v10
	v_lshl_add_u64 v[12:13], v[8:9], 0, 1
	s_nop 0
	v_subb_co_u32_e64 v5, s[2:3], v5, v11, vcc
	v_subrev_co_u32_e64 v10, s[2:3], s24, v14
	v_subb_co_u32_e32 v1, vcc, v7, v1, vcc
	s_nop 0
	v_subbrev_co_u32_e64 v5, s[2:3], 0, v5, s[2:3]
	v_cmp_le_u32_e64 s[2:3], s25, v5
	v_cmp_le_u32_e32 vcc, s25, v1
	s_nop 0
	v_cndmask_b32_e64 v11, 0, -1, s[2:3]
	v_cmp_le_u32_e64 s[2:3], s24, v10
	s_nop 1
	v_cndmask_b32_e64 v10, 0, -1, s[2:3]
	v_cmp_eq_u32_e64 s[2:3], s25, v5
	s_nop 1
	v_cndmask_b32_e64 v5, v11, v10, s[2:3]
	v_lshl_add_u64 v[10:11], v[8:9], 0, 2
	v_cmp_ne_u32_e64 s[2:3], 0, v5
	s_nop 1
	v_cndmask_b32_e64 v5, v13, v11, s[2:3]
	v_cndmask_b32_e64 v11, 0, -1, vcc
	v_cmp_le_u32_e32 vcc, s24, v14
	s_nop 1
	v_cndmask_b32_e64 v13, 0, -1, vcc
	v_cmp_eq_u32_e32 vcc, s25, v1
	s_nop 1
	v_cndmask_b32_e32 v1, v11, v13, vcc
	v_cmp_ne_u32_e32 vcc, 0, v1
	v_cndmask_b32_e64 v1, v12, v10, s[2:3]
	s_nop 0
	v_cndmask_b32_e32 v27, v9, v5, vcc
	v_cndmask_b32_e32 v26, v8, v1, vcc
.LBB0_4:                                ;   in Loop: Header=BB0_2 Depth=1
	s_andn2_saveexec_b64 s[2:3], s[26:27]
	s_cbranch_execz .LBB0_6
; %bb.5:                                ;   in Loop: Header=BB0_2 Depth=1
	v_cvt_f32_u32_e32 v1, s24
	s_sub_i32 s26, 0, s24
	v_mov_b32_e32 v27, v4
	v_rcp_iflag_f32_e32 v1, v1
	s_nop 0
	v_mul_f32_e32 v1, 0x4f7ffffe, v1
	v_cvt_u32_f32_e32 v1, v1
	v_mul_lo_u32 v5, s26, v1
	v_mul_hi_u32 v5, v1, v5
	v_add_u32_e32 v1, v1, v5
	v_mul_hi_u32 v1, v6, v1
	v_mul_lo_u32 v5, v1, s24
	v_sub_u32_e32 v5, v6, v5
	v_add_u32_e32 v8, 1, v1
	v_subrev_u32_e32 v9, s24, v5
	v_cmp_le_u32_e32 vcc, s24, v5
	s_nop 1
	v_cndmask_b32_e32 v5, v5, v9, vcc
	v_cndmask_b32_e32 v1, v1, v8, vcc
	v_add_u32_e32 v8, 1, v1
	v_cmp_le_u32_e32 vcc, s24, v5
	s_nop 1
	v_cndmask_b32_e32 v26, v1, v8, vcc
.LBB0_6:                                ;   in Loop: Header=BB0_2 Depth=1
	s_or_b64 exec, exec, s[2:3]
	v_mad_u64_u32 v[8:9], s[2:3], v26, s24, 0
	s_load_dwordx2 s[2:3], s[18:19], 0x0
	v_mul_lo_u32 v1, v27, s24
	v_mul_lo_u32 v5, v26, s25
	s_load_dwordx2 s[24:25], s[16:17], 0x0
	s_add_u32 s22, s22, 1
	v_add3_u32 v1, v9, v5, v1
	v_sub_co_u32_e32 v5, vcc, v6, v8
	s_addc_u32 s23, s23, 0
	s_nop 0
	v_subb_co_u32_e32 v1, vcc, v7, v1, vcc
	s_add_u32 s16, s16, 8
	s_waitcnt lgkmcnt(0)
	v_mul_lo_u32 v6, s2, v1
	v_mul_lo_u32 v7, s3, v5
	v_mad_u64_u32 v[2:3], s[2:3], s2, v5, v[2:3]
	s_addc_u32 s17, s17, 0
	v_add3_u32 v3, v7, v3, v6
	v_mul_lo_u32 v1, s24, v1
	v_mul_lo_u32 v6, s25, v5
	v_mad_u64_u32 v[24:25], s[2:3], s24, v5, v[24:25]
	s_add_u32 s18, s18, 8
	v_add3_u32 v25, v6, v25, v1
	s_addc_u32 s19, s19, 0
	v_mov_b64_e32 v[6:7], s[10:11]
	s_add_u32 s20, s20, 8
	v_cmp_ge_u64_e32 vcc, s[22:23], v[6:7]
	s_addc_u32 s21, s21, 0
	s_cbranch_vccnz .LBB0_9
; %bb.7:                                ;   in Loop: Header=BB0_2 Depth=1
	v_mov_b64_e32 v[6:7], v[26:27]
	s_branch .LBB0_2
.LBB0_8:
	v_mov_b64_e32 v[24:25], v[2:3]
	v_mov_b64_e32 v[26:27], v[6:7]
.LBB0_9:
	s_load_dwordx2 s[0:1], s[0:1], 0x28
	s_lshl_b64 s[10:11], s[10:11], 3
	s_add_u32 s2, s14, s10
	s_addc_u32 s3, s15, s11
                                        ; implicit-def: $vgpr28
                                        ; implicit-def: $vgpr30
	s_waitcnt lgkmcnt(0)
	v_cmp_gt_u64_e32 vcc, s[0:1], v[26:27]
	v_cmp_le_u64_e64 s[0:1], s[0:1], v[26:27]
	s_and_saveexec_b64 s[14:15], s[0:1]
	s_xor_b64 s[0:1], exec, s[14:15]
; %bb.10:
	s_mov_b32 s14, 0x51eb852
	v_mul_hi_u32 v1, v0, s14
	v_mul_u32_u24_e32 v1, 50, v1
	v_sub_u32_e32 v28, v0, v1
	v_add_u32_e32 v30, 50, v28
                                        ; implicit-def: $vgpr0
                                        ; implicit-def: $vgpr2_vgpr3
; %bb.11:
	s_andn2_saveexec_b64 s[0:1], s[0:1]
	s_cbranch_execz .LBB0_13
; %bb.12:
	s_add_u32 s10, s12, s10
	s_addc_u32 s11, s13, s11
	s_load_dwordx2 s[10:11], s[10:11], 0x0
	s_mov_b32 s12, 0x51eb852
	s_waitcnt lgkmcnt(0)
	v_mul_lo_u32 v1, s11, v26
	v_mul_lo_u32 v6, s10, v27
	v_mad_u64_u32 v[4:5], s[10:11], s10, v26, 0
	v_add3_u32 v5, v5, v6, v1
	v_mul_hi_u32 v1, v0, s12
	v_mul_u32_u24_e32 v1, 50, v1
	v_sub_u32_e32 v28, v0, v1
	v_lshl_add_u64 v[0:1], v[4:5], 3, s[4:5]
	v_lshl_add_u64 v[0:1], v[2:3], 3, v[0:1]
	v_lshlrev_b32_e32 v2, 3, v28
	v_mov_b32_e32 v3, 0
	v_lshl_add_u64 v[0:1], v[0:1], 0, v[2:3]
	global_load_dwordx2 v[4:5], v[0:1], off
	global_load_dwordx2 v[6:7], v[0:1], off offset:400
	global_load_dwordx2 v[8:9], v[0:1], off offset:800
	;; [unrolled: 1-line block ×6, first 2 shown]
	v_add_u32_e32 v30, 50, v28
	v_add_u32_e32 v0, 0, v2
	s_waitcnt vmcnt(5)
	ds_write2_b64 v0, v[4:5], v[6:7] offset1:50
	s_waitcnt vmcnt(3)
	ds_write2_b64 v0, v[8:9], v[10:11] offset0:100 offset1:150
	s_waitcnt vmcnt(1)
	ds_write2_b64 v0, v[12:13], v[14:15] offset0:200 offset1:250
	s_waitcnt vmcnt(0)
	ds_write_b64 v0, v[16:17] offset:2400
.LBB0_13:
	s_or_b64 exec, exec, s[0:1]
	v_lshl_add_u32 v42, v28, 3, 0
	v_add_u32_e32 v29, 0x400, v42
	v_add_u32_e32 v0, 0x800, v42
	s_load_dwordx2 s[2:3], s[2:3], 0x0
	s_waitcnt lgkmcnt(0)
	; wave barrier
	s_waitcnt lgkmcnt(0)
	ds_read2_b64 v[4:7], v42 offset1:50
	ds_read2_b64 v[8:11], v42 offset0:70 offset1:120
	ds_read2_b64 v[12:15], v42 offset0:140 offset1:190
	;; [unrolled: 1-line block ×4, first 2 shown]
	s_mov_b32 s0, 0x3f737871
	s_mov_b32 s10, 0x3f167918
	s_waitcnt lgkmcnt(2)
	v_pk_add_f32 v[34:35], v[10:11], v[14:15] neg_lo:[0,1] neg_hi:[0,1]
	s_waitcnt lgkmcnt(1)
	v_pk_add_f32 v[0:1], v[14:15], v[18:19]
	s_waitcnt lgkmcnt(0)
	v_pk_add_f32 v[32:33], v[10:11], v[22:23] neg_lo:[0,1] neg_hi:[0,1]
	v_pk_fma_f32 v[0:1], v[0:1], 0.5, v[6:7] op_sel_hi:[1,0,1] neg_lo:[1,0,0] neg_hi:[1,0,0]
	v_pk_mul_f32 v[2:3], v[32:33], s[0:1] op_sel_hi:[1,0]
	v_pk_add_f32 v[44:45], v[14:15], v[18:19] neg_lo:[0,1] neg_hi:[0,1]
	v_pk_add_f32 v[36:37], v[22:23], v[18:19] neg_lo:[0,1] neg_hi:[0,1]
	v_pk_mul_f32 v[38:39], v[44:45], s[10:11] op_sel_hi:[1,0]
	v_pk_add_f32 v[40:41], v[34:35], v[36:37]
	v_pk_add_f32 v[34:35], v[0:1], v[2:3] op_sel:[0,1] op_sel_hi:[1,0] neg_lo:[0,1] neg_hi:[0,1]
	v_pk_add_f32 v[36:37], v[0:1], v[2:3] op_sel:[0,1] op_sel_hi:[1,0]
	v_pk_add_f32 v[0:1], v[34:35], v[38:39] op_sel:[0,1] op_sel_hi:[1,0] neg_lo:[0,1] neg_hi:[0,1]
	v_pk_add_f32 v[2:3], v[36:37], v[38:39] op_sel:[0,1] op_sel_hi:[1,0]
	v_pk_mul_f32 v[44:45], v[44:45], s[0:1] op_sel_hi:[1,0]
	v_mov_b32_e32 v3, v1
	v_pk_add_f32 v[0:1], v[10:11], v[22:23]
	v_pk_add_f32 v[46:47], v[14:15], v[10:11] neg_lo:[0,1] neg_hi:[0,1]
	v_pk_fma_f32 v[0:1], v[0:1], 0.5, v[6:7] op_sel_hi:[1,0,1] neg_lo:[1,0,0] neg_hi:[1,0,0]
	v_pk_add_f32 v[48:49], v[18:19], v[22:23] neg_lo:[0,1] neg_hi:[0,1]
	v_pk_mul_f32 v[32:33], v[32:33], s[10:11] op_sel_hi:[1,0]
	v_pk_add_f32 v[46:47], v[46:47], v[48:49]
	v_pk_add_f32 v[48:49], v[0:1], v[44:45] op_sel:[0,1] op_sel_hi:[1,0]
	v_pk_add_f32 v[0:1], v[0:1], v[44:45] op_sel:[0,1] op_sel_hi:[1,0] neg_lo:[0,1] neg_hi:[0,1]
	v_pk_add_f32 v[44:45], v[48:49], v[32:33] op_sel:[0,1] op_sel_hi:[1,0] neg_lo:[0,1] neg_hi:[0,1]
	v_pk_add_f32 v[0:1], v[0:1], v[32:33] op_sel:[0,1] op_sel_hi:[1,0]
	s_mov_b32 s4, 0x3e9e377a
	v_mov_b32_e32 v48, v0
	v_mov_b32_e32 v49, v45
	;; [unrolled: 1-line block ×3, first 2 shown]
	v_pk_fma_f32 v[32:33], v[46:47], s[4:5], v[44:45] op_sel_hi:[1,0,1]
	v_pk_fma_f32 v[0:1], v[46:47], s[4:5], v[48:49] op_sel_hi:[1,0,1]
	v_pk_add_f32 v[46:47], v[12:13], v[16:17]
	v_pk_add_f32 v[48:49], v[8:9], v[20:21] neg_lo:[0,1] neg_hi:[0,1]
	v_pk_fma_f32 v[46:47], v[46:47], 0.5, v[4:5] op_sel_hi:[1,0,1] neg_lo:[1,0,0] neg_hi:[1,0,0]
	v_pk_mul_f32 v[50:51], v[48:49], s[0:1] op_sel_hi:[1,0]
	v_pk_add_f32 v[52:53], v[12:13], v[16:17] neg_lo:[0,1] neg_hi:[0,1]
	v_pk_add_f32 v[56:57], v[8:9], v[12:13] neg_lo:[0,1] neg_hi:[0,1]
	;; [unrolled: 1-line block ×3, first 2 shown]
	v_pk_add_f32 v[44:45], v[4:5], v[8:9]
	v_pk_mul_f32 v[54:55], v[52:53], s[10:11] op_sel_hi:[1,0]
	v_pk_add_f32 v[56:57], v[56:57], v[58:59]
	v_pk_add_f32 v[58:59], v[46:47], v[50:51] op_sel:[0,1] op_sel_hi:[1,0] neg_lo:[0,1] neg_hi:[0,1]
	v_pk_add_f32 v[46:47], v[46:47], v[50:51] op_sel:[0,1] op_sel_hi:[1,0]
	v_pk_add_f32 v[44:45], v[44:45], v[12:13]
	v_pk_add_f32 v[46:47], v[46:47], v[54:55] op_sel:[0,1] op_sel_hi:[1,0]
	v_pk_add_f32 v[50:51], v[58:59], v[54:55] op_sel:[0,1] op_sel_hi:[1,0] neg_lo:[0,1] neg_hi:[0,1]
	v_pk_add_f32 v[44:45], v[44:45], v[16:17]
	v_mov_b32_e32 v54, v50
	v_mov_b32_e32 v55, v47
	v_lshl_add_u32 v31, v28, 5, v42
	v_pk_add_f32 v[44:45], v[44:45], v[20:21]
	v_pk_fma_f32 v[54:55], v[56:57], s[4:5], v[54:55] op_sel_hi:[1,0,1]
	s_waitcnt lgkmcnt(0)
	; wave barrier
	ds_write2_b64 v31, v[44:45], v[54:55] offset1:1
	v_pk_add_f32 v[44:45], v[8:9], v[20:21]
	v_pk_add_f32 v[8:9], v[12:13], v[8:9] neg_lo:[0,1] neg_hi:[0,1]
	v_pk_add_f32 v[12:13], v[16:17], v[20:21] neg_lo:[0,1] neg_hi:[0,1]
	v_pk_fma_f32 v[4:5], v[44:45], 0.5, v[4:5] op_sel_hi:[1,0,1] neg_lo:[1,0,0] neg_hi:[1,0,0]
	v_pk_add_f32 v[8:9], v[8:9], v[12:13]
	v_pk_mul_f32 v[12:13], v[52:53], s[0:1] op_sel_hi:[1,0]
	v_pk_mul_f32 v[16:17], v[48:49], s[10:11] op_sel_hi:[1,0]
	v_pk_add_f32 v[20:21], v[4:5], v[12:13] op_sel:[0,1] op_sel_hi:[1,0]
	v_pk_add_f32 v[4:5], v[4:5], v[12:13] op_sel:[0,1] op_sel_hi:[1,0] neg_lo:[0,1] neg_hi:[0,1]
	v_pk_add_f32 v[12:13], v[20:21], v[16:17] op_sel:[0,1] op_sel_hi:[1,0] neg_lo:[0,1] neg_hi:[0,1]
	v_pk_add_f32 v[4:5], v[4:5], v[16:17] op_sel:[0,1] op_sel_hi:[1,0]
	v_mov_b32_e32 v16, v12
	v_mov_b32_e32 v17, v5
	;; [unrolled: 1-line block ×3, first 2 shown]
	v_pk_fma_f32 v[16:17], v[8:9], s[4:5], v[16:17] op_sel_hi:[1,0,1]
	v_pk_fma_f32 v[4:5], v[8:9], s[4:5], v[4:5] op_sel_hi:[1,0,1]
	v_mov_b32_e32 v47, v51
	v_pk_fma_f32 v[2:3], v[40:41], s[4:5], v[2:3] op_sel_hi:[1,0,1]
	ds_write2_b64 v31, v[16:17], v[4:5] offset0:2 offset1:3
	v_pk_fma_f32 v[4:5], v[56:57], s[4:5], v[46:47] op_sel_hi:[1,0,1]
	v_cmp_gt_u32_e64 s[0:1], 20, v28
	ds_write_b64 v31, v[4:5] offset:32
	s_and_saveexec_b64 s[10:11], s[0:1]
	s_cbranch_execz .LBB0_15
; %bb.14:
	v_mov_b32_e32 v4, v39
	v_mov_b32_e32 v5, v38
	v_pk_add_f32 v[6:7], v[6:7], v[10:11]
	v_pk_add_f32 v[10:11], v[34:35], v[4:5] neg_lo:[0,1] neg_hi:[0,1]
	v_pk_add_f32 v[6:7], v[6:7], v[14:15]
	v_pk_add_f32 v[4:5], v[36:37], v[4:5]
	v_pk_mul_f32 v[8:9], v[40:41], s[4:5] op_sel_hi:[1,0]
	v_pk_add_f32 v[6:7], v[6:7], v[18:19]
	v_mov_b32_e32 v11, v5
	v_mad_i32_i24 v12, v30, 40, 0
	v_pk_add_f32 v[6:7], v[6:7], v[22:23]
	v_pk_add_f32 v[4:5], v[8:9], v[10:11]
	ds_write2_b64 v12, v[6:7], v[4:5] offset1:1
	ds_write2_b64 v12, v[32:33], v[0:1] offset0:2 offset1:3
	ds_write_b64 v12, v[2:3] offset:32
.LBB0_15:
	s_or_b64 exec, exec, s[10:11]
	s_movk_i32 s0, 0xcd
	v_mul_lo_u16_sdwa v4, v28, s0 dst_sel:DWORD dst_unused:UNUSED_PAD src0_sel:BYTE_0 src1_sel:DWORD
	v_lshrrev_b16_e32 v31, 10, v4
	v_mul_lo_u16_e32 v4, 5, v31
	v_sub_u16_e32 v35, v28, v4
	v_mov_b32_e32 v4, 6
	v_mul_u32_u24_sdwa v4, v35, v4 dst_sel:DWORD dst_unused:UNUSED_PAD src0_sel:BYTE_0 src1_sel:DWORD
	v_lshlrev_b32_e32 v16, 3, v4
	s_waitcnt lgkmcnt(0)
	; wave barrier
	s_waitcnt lgkmcnt(0)
	global_load_dwordx4 v[4:7], v16, s[8:9]
	global_load_dwordx4 v[8:11], v16, s[8:9] offset:16
	global_load_dwordx4 v[12:15], v16, s[8:9] offset:32
	v_lshl_add_u32 v34, v30, 3, 0
	ds_read2_b64 v[16:19], v42 offset1:100
	ds_read2_b64 v[20:23], v42 offset0:150 offset1:200
	ds_read2_b64 v[36:39], v29 offset0:122 offset1:172
	ds_read_b64 v[40:41], v34
	s_mov_b32 s12, 0xbf5ff5aa
	s_mov_b32 s10, 0x3f3bfb3b
	;; [unrolled: 1-line block ×9, first 2 shown]
	s_waitcnt lgkmcnt(0)
	; wave barrier
	s_waitcnt vmcnt(2) lgkmcnt(0)
	v_mul_f32_e32 v29, v5, v41
	v_mul_f32_e32 v43, v5, v40
	;; [unrolled: 1-line block ×4, first 2 shown]
	s_waitcnt vmcnt(1)
	v_mul_f32_e32 v44, v8, v20
	v_mul_f32_e32 v46, v9, v21
	;; [unrolled: 1-line block ×6, first 2 shown]
	s_waitcnt vmcnt(0)
	v_mul_f32_e32 v7, v13, v37
	v_mul_f32_e32 v13, v13, v36
	;; [unrolled: 1-line block ×4, first 2 shown]
	v_fmac_f32_e32 v29, v4, v40
	v_fma_f32 v49, v4, v41, -v43
	v_fmac_f32_e32 v5, v6, v18
	v_fma_f32 v45, v6, v19, -v45
	v_fma_f32 v9, v8, v21, -v9
	;; [unrolled: 1-line block ×3, first 2 shown]
	v_fmac_f32_e32 v7, v12, v36
	v_fma_f32 v47, v12, v37, -v13
	v_fmac_f32_e32 v22, v14, v38
	v_fma_f32 v21, v14, v39, -v15
	v_add_f32_e32 v10, v29, v22
	v_add_f32_e32 v8, v5, v7
	v_sub_f32_e32 v4, v45, v47
	v_sub_f32_e32 v6, v11, v9
	v_pk_add_f32 v[14:15], v[48:49], v[20:21]
	v_pk_add_f32 v[18:19], v[44:45], v[46:47]
	v_sub_f32_e32 v13, v29, v22
	v_sub_f32_e32 v12, v49, v21
	v_add_f32_e32 v38, v6, v4
	v_pk_add_f32 v[20:21], v[8:9], v[10:11]
	v_pk_add_f32 v[22:23], v[18:19], v[14:15]
	v_sub_f32_e32 v29, v8, v10
	v_sub_f32_e32 v39, v6, v4
	;; [unrolled: 1-line block ×4, first 2 shown]
	v_mov_b32_e32 v4, v14
	v_mov_b32_e32 v6, v18
	v_add_f32_e32 v11, v38, v12
	v_sub_f32_e32 v10, v10, v22
	v_sub_f32_e32 v12, v22, v8
	v_pk_add_f32 v[8:9], v[20:21], v[22:23]
	v_pk_add_f32 v[6:7], v[4:5], v[6:7] neg_lo:[0,1] neg_hi:[0,1]
	v_mul_f32_e32 v22, 0x3f08b237, v39
	v_pk_add_f32 v[4:5], v[8:9], v[16:17]
	v_mul_f32_e32 v16, 0x3f4a47b2, v10
	v_mul_f32_e32 v17, 0x3d64c772, v12
	v_pk_add_f32 v[36:37], v[18:19], v[14:15] neg_lo:[0,1] neg_hi:[0,1]
	v_mul_f32_e32 v14, 0x3f5ff5aa, v41
	v_fma_f32 v10, v41, s12, -v22
	v_fmamk_f32 v20, v8, 0xbf955555, v4
	v_fma_f32 v41, v29, s10, -v17
	v_fma_f32 v29, v29, s14, -v16
	v_fmac_f32_e32 v16, 0x3d64c772, v12
	v_add_f32_e32 v18, v6, v7
	v_fmac_f32_e32 v22, 0xbeae86e6, v40
	v_fmamk_f32 v36, v40, 0x3eae86e6, v14
	v_add_f32_e32 v40, v16, v20
	v_add_f32_e32 v44, v41, v20
	;; [unrolled: 1-line block ×3, first 2 shown]
	v_mov_b32_e32 v20, v21
	v_mov_b32_e32 v21, v6
	;; [unrolled: 1-line block ×3, first 2 shown]
	v_sub_f32_e32 v23, v7, v13
	v_add_f32_e32 v14, v18, v13
	v_pk_add_f32 v[12:13], v[12:13], v[20:21] neg_lo:[0,1] neg_hi:[0,1]
	v_mov_b32_e32 v8, v37
	v_pk_mul_f32 v[12:13], v[12:13], s[4:5]
	v_mul_f32_e32 v18, 0xbf5ff5aa, v23
	v_mul_f32_e32 v17, 0xbee1c552, v14
	v_pk_mul_f32 v[38:39], v[8:9], s[10:11]
	v_mov_b32_e32 v6, v19
	v_xor_b32_e32 v14, 0x80000000, v12
	v_mov_b32_e32 v15, v5
	v_pk_add_f32 v[6:7], v[20:21], v[6:7] neg_lo:[0,1] neg_hi:[0,1]
	v_mov_b32_e32 v39, v18
	v_pk_fma_f32 v[8:9], v[8:9], s[10:11], v[14:15] neg_lo:[1,0,0] neg_hi:[1,0,0]
	v_pk_fma_f32 v[18:19], v[6:7], s[0:1], v[38:39] neg_lo:[1,0,0] neg_hi:[1,0,0]
	v_fma_f32 v14, v23, s13, -v13
	v_pk_fma_f32 v[6:7], v[6:7], s[0:1], v[12:13]
	v_mov_b32_e32 v16, v9
	v_pk_add_f32 v[6:7], v[6:7], v[16:17]
	v_pk_add_f32 v[12:13], v[18:19], v[16:17]
	v_mov_b32_e32 v9, v17
	v_mov_b32_e32 v17, v14
	v_pk_add_f32 v[14:15], v[8:9], v[16:17]
	v_mov_b32_e32 v9, 3
	v_fmac_f32_e32 v22, 0xbee1c552, v11
	v_fmac_f32_e32 v10, 0xbee1c552, v11
	;; [unrolled: 1-line block ×3, first 2 shown]
	v_mul_u32_u24_e32 v8, 0x118, v31
	v_lshlrev_b32_sdwa v9, v9, v35 dst_sel:DWORD dst_unused:UNUSED_PAD src0_sel:DWORD src1_sel:BYTE_0
	v_mov_b32_e32 v23, v6
	v_mov_b32_e32 v41, v7
	;; [unrolled: 1-line block ×6, first 2 shown]
	v_add3_u32 v29, 0, v8, v9
	v_pk_add_f32 v[8:9], v[22:23], v[40:41]
	v_pk_add_f32 v[6:7], v[22:23], v[40:41] neg_lo:[0,1] neg_hi:[0,1]
	v_pk_add_f32 v[14:15], v[36:37], v[46:47]
	v_pk_add_f32 v[16:17], v[36:37], v[46:47] neg_lo:[0,1] neg_hi:[0,1]
	v_pk_add_f32 v[18:19], v[44:45], v[10:11] neg_lo:[0,1] neg_hi:[0,1]
	v_pk_add_f32 v[20:21], v[44:45], v[10:11]
	v_pk_add_f32 v[12:13], v[10:11], v[44:45] neg_lo:[0,1] neg_hi:[0,1]
	v_pk_add_f32 v[10:11], v[46:47], v[36:37] neg_lo:[0,1] neg_hi:[0,1]
	;; [unrolled: 1-line block ×3, first 2 shown]
	v_mov_b32_e32 v6, v8
	v_mov_b32_e32 v16, v14
	;; [unrolled: 1-line block ×6, first 2 shown]
	v_cmp_gt_u32_e64 s[0:1], 35, v28
	ds_write2_b64 v29, v[4:5], v[6:7] offset1:5
	ds_write2_b64 v29, v[16:17], v[18:19] offset0:10 offset1:15
	ds_write2_b64 v29, v[12:13], v[10:11] offset0:20 offset1:25
	ds_write_b64 v29, v[22:23] offset:240
	s_waitcnt lgkmcnt(0)
	; wave barrier
	s_waitcnt lgkmcnt(0)
	s_and_saveexec_b64 s[4:5], s[0:1]
	s_cbranch_execz .LBB0_17
; %bb.16:
	ds_read2_b64 v[4:7], v42 offset1:35
	ds_read2_b64 v[8:11], v42 offset0:210 offset1:245
	ds_read2_b64 v[16:19], v42 offset0:70 offset1:105
	;; [unrolled: 1-line block ×3, first 2 shown]
	v_add_u32_e32 v0, 0x800, v42
	ds_read2_b64 v[0:3], v0 offset0:24 offset1:59
	s_waitcnt lgkmcnt(3)
	v_mov_b32_e32 v33, v11
	v_mov_b32_e32 v32, v10
	;; [unrolled: 1-line block ×3, first 2 shown]
	s_waitcnt lgkmcnt(1)
	v_mov_b32_e32 v10, v14
	v_mov_b32_e32 v20, v12
	;; [unrolled: 1-line block ×5, first 2 shown]
.LBB0_17:
	s_or_b64 exec, exec, s[4:5]
	s_waitcnt lgkmcnt(0)
	; wave barrier
	s_waitcnt lgkmcnt(0)
	s_and_saveexec_b64 s[4:5], s[0:1]
	s_cbranch_execz .LBB0_19
; %bb.18:
	v_subrev_u32_e32 v6, 35, v28
	v_cndmask_b32_e64 v6, v6, v28, s[0:1]
	v_mul_i32_i24_e32 v36, 9, v6
	v_mov_b32_e32 v37, 0
	v_lshl_add_u64 v[40:41], v[36:37], 3, s[8:9]
	global_load_dwordx4 v[36:39], v[40:41], off offset:256
	global_load_dwordx4 v[44:47], v[40:41], off offset:272
	;; [unrolled: 1-line block ×4, first 2 shown]
	global_load_dwordx2 v[56:57], v[40:41], off offset:304
	v_mov_b32_e32 v12, v13
	v_mov_b32_e32 v16, v21
	;; [unrolled: 1-line block ×3, first 2 shown]
	s_mov_b32 s0, 0x3e9e377a
	s_mov_b32 s1, 0x3f167918
	;; [unrolled: 1-line block ×8, first 2 shown]
	s_waitcnt vmcnt(4)
	v_pk_mul_f32 v[16:17], v[16:17], v[36:37] op_sel_hi:[0,1]
	v_pk_mul_f32 v[12:13], v[12:13], v[38:39] op_sel_hi:[0,1]
	v_pk_fma_f32 v[40:41], v[18:19], v[36:37], v[16:17] op_sel:[0,0,1] op_sel_hi:[1,1,0]
	v_pk_fma_f32 v[16:17], v[18:19], v[36:37], v[16:17] op_sel:[0,0,1] op_sel_hi:[0,1,0] neg_lo:[1,0,0] neg_hi:[1,0,0]
	v_pk_fma_f32 v[18:19], v[20:21], v[38:39], v[12:13] op_sel:[0,0,1] op_sel_hi:[1,1,0]
	v_pk_fma_f32 v[12:13], v[20:21], v[38:39], v[12:13] op_sel:[0,0,1] op_sel_hi:[0,1,0] neg_lo:[1,0,0] neg_hi:[1,0,0]
	v_mov_b32_e32 v16, v9
	v_mov_b32_e32 v12, v15
	s_waitcnt vmcnt(3)
	v_pk_mul_f32 v[36:37], v[16:17], v[46:47] op_sel_hi:[0,1]
	v_pk_mul_f32 v[38:39], v[12:13], v[44:45] op_sel_hi:[0,1]
	v_pk_fma_f32 v[58:59], v[22:23], v[46:47], v[36:37] op_sel:[0,0,1] op_sel_hi:[1,1,0]
	v_pk_fma_f32 v[22:23], v[22:23], v[46:47], v[36:37] op_sel:[0,0,1] op_sel_hi:[0,1,0] neg_lo:[1,0,0] neg_hi:[1,0,0]
	v_pk_fma_f32 v[36:37], v[10:11], v[44:45], v[38:39] op_sel:[0,0,1] op_sel_hi:[1,1,0]
	v_pk_fma_f32 v[10:11], v[10:11], v[44:45], v[38:39] op_sel:[0,0,1] op_sel_hi:[0,1,0] neg_lo:[1,0,0] neg_hi:[1,0,0]
	v_mov_b32_e32 v20, v33
	v_mov_b32_e32 v10, v7
	s_waitcnt vmcnt(2)
	v_pk_mul_f32 v[6:7], v[6:7], v[50:51] op_sel_hi:[0,1]
	s_waitcnt vmcnt(1)
	v_pk_mul_f32 v[38:39], v[0:1], v[54:55] op_sel:[1,0]
	v_pk_fma_f32 v[44:45], v[14:15], v[50:51], v[6:7] op_sel:[0,0,1] op_sel_hi:[1,1,0]
	v_pk_fma_f32 v[6:7], v[14:15], v[50:51], v[6:7] op_sel:[0,0,1] op_sel_hi:[0,1,0] neg_lo:[1,0,0] neg_hi:[1,0,0]
	s_waitcnt vmcnt(0)
	v_pk_mul_f32 v[14:15], v[2:3], v[56:57] op_sel:[1,0]
	v_pk_mul_f32 v[20:21], v[20:21], v[52:53] op_sel_hi:[0,1]
	v_pk_fma_f32 v[50:51], v[0:1], v[54:55], v[38:39] op_sel:[0,0,1] op_sel_hi:[1,1,0]
	v_pk_fma_f32 v[0:1], v[0:1], v[54:55], v[38:39] op_sel:[0,0,1] op_sel_hi:[0,1,0] neg_lo:[1,0,0] neg_hi:[1,0,0]
	v_pk_fma_f32 v[38:39], v[2:3], v[56:57], v[14:15] op_sel:[0,0,1] op_sel_hi:[1,1,0]
	v_pk_fma_f32 v[2:3], v[2:3], v[56:57], v[14:15] op_sel:[0,0,1] op_sel_hi:[0,1,0] neg_lo:[1,0,0] neg_hi:[1,0,0]
	;; [unrolled: 2-line block ×3, first 2 shown]
	v_mov_b32_e32 v45, v7
	v_mov_b32_e32 v51, v1
	;; [unrolled: 1-line block ×6, first 2 shown]
	v_pk_mul_f32 v[46:47], v[10:11], v[48:49] op_sel_hi:[0,1]
	v_mov_b32_e32 v37, v11
	v_mov_b32_e32 v2, v17
	;; [unrolled: 1-line block ×3, first 2 shown]
	v_pk_add_f32 v[10:11], v[0:1], v[6:7] neg_lo:[0,1] neg_hi:[0,1]
	v_pk_add_f32 v[0:1], v[6:7], v[0:1] neg_lo:[0,1] neg_hi:[0,1]
	v_pk_fma_f32 v[32:33], v[8:9], v[48:49], v[46:47] op_sel:[0,0,1] op_sel_hi:[0,1,0]
	v_pk_fma_f32 v[8:9], v[8:9], v[48:49], v[46:47] op_sel:[0,0,1] op_sel_hi:[0,1,0] neg_lo:[1,0,0] neg_hi:[1,0,0]
	v_mov_b32_e32 v41, v17
	v_mov_b32_e32 v39, v3
	;; [unrolled: 1-line block ×3, first 2 shown]
	v_pk_add_f32 v[46:47], v[2:3], v[20:21] neg_lo:[0,1] neg_hi:[0,1]
	v_mov_b32_e32 v48, v1
	v_pk_add_f32 v[2:3], v[20:21], v[2:3] neg_lo:[0,1] neg_hi:[0,1]
	v_mov_b32_e32 v19, v13
	v_mov_b32_e32 v29, v32
	v_pk_add_f32 v[12:13], v[36:37], v[14:15]
	v_pk_add_f32 v[16:17], v[40:41], v[38:39] neg_lo:[0,1] neg_hi:[0,1]
	v_pk_add_f32 v[6:7], v[40:41], v[38:39]
	v_pk_add_f32 v[0:1], v[0:1], v[48:49]
	v_mov_b32_e32 v20, v3
	v_mov_b32_e32 v59, v23
	v_pk_add_f32 v[22:23], v[36:37], v[14:15] neg_lo:[0,1] neg_hi:[0,1]
	v_mov_b32_e32 v8, v11
	v_fma_f32 v31, -0.5, v12, v32
	v_mov_b32_e32 v12, v47
	v_fmac_f32_e32 v29, -0.5, v6
	v_mov_b32_e32 v1, v17
	v_pk_add_f32 v[2:3], v[2:3], v[20:21]
	v_mov_b32_e32 v33, v9
	v_fma_f32 v35, -0.5, v13, v9
	v_pk_add_f32 v[10:11], v[10:11], v[8:9]
	v_pk_add_f32 v[12:13], v[46:47], v[12:13]
	v_fmamk_f32 v43, v23, 0xbf737871, v29
	v_pk_mul_f32 v[0:1], v[0:1], s[0:1]
	v_fmac_f32_e32 v9, -0.5, v7
	v_mov_b32_e32 v3, v16
	v_fmac_f32_e32 v29, 0x3f737871, v23
	v_mov_b32_e32 v11, v23
	v_mov_b32_e32 v13, v22
	v_add_f32_e32 v43, v1, v43
	v_fmamk_f32 v7, v22, 0x3f737871, v9
	v_pk_mul_f32 v[2:3], v[2:3], s[0:1]
	v_sub_f32_e32 v1, v29, v1
	v_fmac_f32_e32 v9, 0xbf737871, v22
	v_pk_add_f32 v[22:23], v[32:33], v[40:41]
	v_fmamk_f32 v6, v17, 0x3f737871, v31
	v_pk_mul_f32 v[10:11], v[10:11], s[0:1]
	v_add_f32_e32 v46, v0, v43
	v_sub_f32_e32 v7, v7, v3
	v_add_f32_e32 v0, v0, v1
	v_add_f32_e32 v1, v3, v9
	v_fmac_f32_e32 v31, 0xbf737871, v17
	v_pk_add_f32 v[22:23], v[22:23], v[36:37]
	v_fmamk_f32 v8, v16, 0xbf737871, v35
	v_pk_mul_f32 v[12:13], v[12:13], s[0:1]
	v_add_f32_e32 v6, v11, v6
	v_add_f32_e32 v20, v2, v7
	v_add_f32_e32 v2, v2, v1
	v_sub_f32_e32 v1, v31, v11
	v_fmac_f32_e32 v35, 0x3f737871, v16
	v_pk_add_f32 v[14:15], v[22:23], v[14:15]
	v_pk_add_f32 v[32:33], v[18:19], v[58:59]
	v_pk_add_f32 v[36:37], v[44:45], v[50:51] neg_lo:[0,1] neg_hi:[0,1]
	v_sub_f32_e32 v8, v8, v13
	v_add_f32_e32 v6, v10, v6
	v_add_f32_e32 v10, v10, v1
	;; [unrolled: 1-line block ×3, first 2 shown]
	v_pk_add_f32 v[14:15], v[14:15], v[38:39]
	v_pk_fma_f32 v[32:33], v[32:33], 0.5, v[4:5] op_sel_hi:[1,0,1] neg_lo:[1,0,0] neg_hi:[1,0,0]
	v_pk_mul_f32 v[38:39], v[36:37], s[10:11] op_sel_hi:[1,0]
	v_pk_add_f32 v[40:41], v[18:19], v[58:59] neg_lo:[0,1] neg_hi:[0,1]
	v_pk_add_f32 v[52:53], v[44:45], v[18:19] neg_lo:[0,1] neg_hi:[0,1]
	;; [unrolled: 1-line block ×3, first 2 shown]
	v_add_f32_e32 v8, v12, v8
	v_add_f32_e32 v12, v12, v1
	v_pk_add_f32 v[16:17], v[4:5], v[44:45]
	v_pk_mul_f32 v[48:49], v[40:41], s[12:13] op_sel_hi:[1,0]
	v_pk_add_f32 v[52:53], v[52:53], v[54:55]
	v_pk_add_f32 v[54:55], v[32:33], v[38:39] op_sel:[0,1] op_sel_hi:[1,0] neg_lo:[0,1] neg_hi:[0,1]
	v_pk_add_f32 v[32:33], v[32:33], v[38:39] op_sel:[0,1] op_sel_hi:[1,0]
	v_pk_add_f32 v[16:17], v[16:17], v[18:19]
	v_pk_add_f32 v[32:33], v[32:33], v[48:49] op_sel:[0,1] op_sel_hi:[1,0]
	v_pk_add_f32 v[38:39], v[54:55], v[48:49] op_sel:[0,1] op_sel_hi:[1,0] neg_lo:[0,1] neg_hi:[0,1]
	v_pk_mul_f32 v[12:13], v[12:13], s[16:17] op_sel_hi:[0,1]
	v_pk_add_f32 v[16:17], v[16:17], v[58:59]
	v_mov_b32_e32 v48, v38
	v_mov_b32_e32 v49, v33
	v_pk_fma_f32 v[54:55], v[10:11], s[14:15], v[12:13] neg_lo:[0,0,1] neg_hi:[0,0,1]
	v_pk_fma_f32 v[10:11], v[10:11], s[14:15], v[12:13] op_sel_hi:[0,1,1]
	v_pk_add_f32 v[16:17], v[16:17], v[50:51]
	v_pk_fma_f32 v[48:49], v[52:53], s[0:1], v[48:49] op_sel_hi:[1,0,1]
	v_mov_b32_e32 v55, v11
	v_pk_add_f32 v[22:23], v[16:17], v[14:15]
	v_pk_add_f32 v[10:11], v[48:49], v[54:55]
	ds_write2_b64 v42, v[22:23], v[10:11] offset1:35
	v_pk_add_f32 v[10:11], v[18:19], v[44:45] neg_lo:[0,1] neg_hi:[0,1]
	v_pk_add_f32 v[12:13], v[58:59], v[50:51] neg_lo:[0,1] neg_hi:[0,1]
	s_mov_b32 s11, s0
	v_pk_add_f32 v[10:11], v[10:11], v[12:13]
	v_pk_add_f32 v[12:13], v[44:45], v[50:51]
	s_mov_b32 s14, s0
	s_mov_b32 s15, s10
	v_pk_mul_f32 v[2:3], v[2:3], s[10:11] op_sel_hi:[0,1]
	v_pk_fma_f32 v[4:5], v[12:13], 0.5, v[4:5] op_sel_hi:[1,0,1] neg_lo:[1,0,0] neg_hi:[1,0,0]
	v_pk_fma_f32 v[12:13], v[0:1], s[14:15], v[2:3] neg_lo:[0,0,1] neg_hi:[0,0,1]
	v_pk_fma_f32 v[0:1], v[0:1], s[14:15], v[2:3] op_sel_hi:[0,1,1]
	v_mov_b32_e32 v13, v1
	v_pk_mul_f32 v[0:1], v[40:41], s[10:11] op_sel_hi:[1,0]
	v_pk_mul_f32 v[2:3], v[36:37], s[12:13] op_sel_hi:[1,0]
	v_pk_add_f32 v[18:19], v[4:5], v[0:1] op_sel:[0,1] op_sel_hi:[1,0]
	v_pk_add_f32 v[0:1], v[4:5], v[0:1] op_sel:[0,1] op_sel_hi:[1,0] neg_lo:[0,1] neg_hi:[0,1]
	s_mov_b32 s12, 0xbe9e377a
	v_pk_add_f32 v[0:1], v[0:1], v[2:3] op_sel:[0,1] op_sel_hi:[1,0]
	v_pk_add_f32 v[2:3], v[18:19], v[2:3] op_sel:[0,1] op_sel_hi:[1,0] neg_lo:[0,1] neg_hi:[0,1]
	v_mov_b32_e32 v5, v1
	v_mov_b32_e32 v4, v2
	s_mov_b32 s13, s10
	v_pk_mul_f32 v[20:21], v[20:21], s[10:11] op_sel_hi:[0,1]
	v_mov_b32_e32 v1, v3
	v_pk_fma_f32 v[4:5], v[10:11], s[0:1], v[4:5] op_sel_hi:[1,0,1]
	v_pk_fma_f32 v[20:21], v[46:47], s[12:13], v[20:21] op_sel_hi:[0,1,1] neg_lo:[0,0,1] neg_hi:[0,0,1]
	v_pk_fma_f32 v[0:1], v[10:11], s[0:1], v[0:1] op_sel_hi:[1,0,1]
	v_pk_add_f32 v[18:19], v[4:5], v[12:13]
	v_pk_add_f32 v[2:3], v[0:1], v[20:21]
	ds_write2_b64 v42, v[18:19], v[2:3] offset0:70 offset1:105
	s_mov_b32 s10, 0xbf4f1bbd
	s_mov_b32 s11, s1
	v_pk_mul_f32 v[2:3], v[8:9], s[16:17] op_sel_hi:[0,1]
	v_mov_b32_e32 v33, v39
	v_pk_fma_f32 v[2:3], v[6:7], s[10:11], v[2:3] op_sel_hi:[0,1,1] neg_lo:[0,0,1] neg_hi:[0,0,1]
	v_pk_fma_f32 v[6:7], v[52:53], s[0:1], v[32:33] op_sel_hi:[1,0,1]
	v_pk_add_f32 v[10:11], v[16:17], v[14:15] neg_lo:[0,1] neg_hi:[0,1]
	v_pk_add_f32 v[8:9], v[6:7], v[2:3]
	ds_write2_b64 v42, v[8:9], v[10:11] offset0:140 offset1:175
	v_pk_add_f32 v[8:9], v[48:49], v[54:55] neg_lo:[0,1] neg_hi:[0,1]
	v_pk_add_f32 v[4:5], v[4:5], v[12:13] neg_lo:[0,1] neg_hi:[0,1]
	ds_write2_b64 v42, v[8:9], v[4:5] offset0:210 offset1:245
	v_pk_add_f32 v[0:1], v[0:1], v[20:21] neg_lo:[0,1] neg_hi:[0,1]
	v_pk_add_f32 v[2:3], v[6:7], v[2:3] neg_lo:[0,1] neg_hi:[0,1]
	v_add_u32_e32 v4, 0x800, v42
	ds_write2_b64 v4, v[0:1], v[2:3] offset0:24 offset1:59
.LBB0_19:
	s_or_b64 exec, exec, s[4:5]
	s_waitcnt lgkmcnt(0)
	; wave barrier
	s_waitcnt lgkmcnt(0)
	ds_read_b64 v[6:7], v42
	v_lshlrev_b32_e32 v0, 3, v28
	v_sub_u32_e32 v8, 0, v0
	v_cmp_ne_u32_e64 s[0:1], 0, v28
                                        ; implicit-def: $vgpr2_vgpr3
                                        ; implicit-def: $vgpr1
                                        ; implicit-def: $vgpr4_vgpr5
	s_and_saveexec_b64 s[4:5], s[0:1]
	s_xor_b64 s[0:1], exec, s[4:5]
	s_cbranch_execz .LBB0_21
; %bb.20:
	v_mov_b32_e32 v29, 0
	v_lshl_add_u64 v[0:1], v[28:29], 3, s[8:9]
	global_load_dwordx2 v[2:3], v[0:1], off offset:2760
	ds_read_b64 v[0:1], v8 offset:2800
	v_mov_b32_e32 v5, 0.5
	v_mov_b32_e32 v10, v5
	s_waitcnt lgkmcnt(0)
	v_pk_add_f32 v[12:13], v[0:1], v[6:7]
	v_pk_add_f32 v[0:1], v[6:7], v[0:1] neg_lo:[0,1] neg_hi:[0,1]
	v_mov_b32_e32 v6, v13
	v_mov_b32_e32 v7, v0
	v_pk_mul_f32 v[6:7], v[6:7], 0.5 op_sel_hi:[1,0]
	s_waitcnt vmcnt(0)
	v_mov_b32_e32 v4, v3
	v_mov_b32_e32 v0, v7
	;; [unrolled: 1-line block ×4, first 2 shown]
	v_pk_mul_f32 v[0:1], v[4:5], v[0:1]
	v_pk_mul_f32 v[14:15], v[2:3], v[6:7] op_sel_hi:[0,1]
	v_pk_fma_f32 v[4:5], v[12:13], v[10:11], v[0:1]
	v_pk_fma_f32 v[10:11], v[12:13], v[10:11], v[0:1] neg_lo:[0,0,1] neg_hi:[0,0,1]
	v_add_f32_e32 v0, v14, v4
	v_sub_f32_e32 v1, v5, v15
	v_pk_fma_f32 v[2:3], v[2:3], v[6:7], v[10:11] op_sel_hi:[0,1,1] neg_lo:[1,0,0] neg_hi:[1,0,0]
	ds_write_b32 v42, v0
	v_mov_b64_e32 v[4:5], v[28:29]
                                        ; implicit-def: $vgpr6_vgpr7
.LBB0_21:
	s_andn2_saveexec_b64 s[0:1], s[0:1]
	s_cbranch_execz .LBB0_23
; %bb.22:
	s_waitcnt lgkmcnt(0)
	v_mov_b32_e32 v0, v7
	v_pk_add_f32 v[0:1], v[6:7], v[0:1] neg_lo:[0,1] neg_hi:[0,1]
	v_add_f32_e32 v3, v7, v6
	v_mov_b32_e32 v1, 0
	ds_read_b32 v2, v1 offset:1404
	v_mov_b64_e32 v[4:5], 0
	ds_write_b32 v42, v3
	s_waitcnt lgkmcnt(1)
	v_xor_b32_e32 v2, 0x80000000, v2
	ds_write_b32 v1, v2 offset:1404
	v_mov_b64_e32 v[2:3], v[0:1]
.LBB0_23:
	s_or_b64 exec, exec, s[0:1]
	v_mov_b32_e32 v31, 0
	s_waitcnt lgkmcnt(0)
	v_lshl_add_u64 v[6:7], v[30:31], 3, s[8:9]
	global_load_dwordx2 v[6:7], v[6:7], off offset:2760
	s_add_u32 s0, s8, 0xac8
	s_addc_u32 s1, s9, 0
	v_lshl_add_u64 v[4:5], v[4:5], 3, s[0:1]
	global_load_dwordx2 v[10:11], v[4:5], off offset:800
	ds_write_b32 v42, v1 offset:4
	ds_write_b64 v8, v[2:3] offset:2800
	ds_read_b64 v[2:3], v34
	ds_read_b64 v[12:13], v8 offset:2400
	v_mov_b32_e32 v1, 0.5
	v_mov_b32_e32 v14, v1
	v_cmp_gt_u32_e64 s[0:1], 25, v28
	s_waitcnt lgkmcnt(0)
	v_pk_add_f32 v[16:17], v[2:3], v[12:13]
	v_pk_add_f32 v[2:3], v[2:3], v[12:13] neg_lo:[0,1] neg_hi:[0,1]
	v_mov_b32_e32 v12, v17
	v_mov_b32_e32 v13, v2
	v_pk_mul_f32 v[12:13], v[12:13], 0.5 op_sel_hi:[1,0]
	s_waitcnt vmcnt(1)
	v_mov_b32_e32 v0, v7
	v_mov_b32_e32 v2, v13
	;; [unrolled: 1-line block ×4, first 2 shown]
	v_pk_mul_f32 v[2:3], v[0:1], v[2:3]
	s_waitcnt vmcnt(0)
	v_mov_b32_e32 v0, v11
	v_pk_fma_f32 v[18:19], v[16:17], v[14:15], v[2:3]
	v_pk_fma_f32 v[2:3], v[16:17], v[14:15], v[2:3] neg_lo:[0,0,1] neg_hi:[0,0,1]
	v_pk_fma_f32 v[14:15], v[6:7], v[12:13], v[18:19]
	v_pk_fma_f32 v[16:17], v[6:7], v[12:13], v[18:19] op_sel_hi:[0,1,1] neg_lo:[1,0,0] neg_hi:[1,0,0]
	v_mov_b32_e32 v15, v17
	v_pk_fma_f32 v[2:3], v[6:7], v[12:13], v[2:3] op_sel_hi:[0,1,1] neg_lo:[1,0,0] neg_hi:[1,0,0]
	ds_write_b64 v34, v[14:15]
	ds_write_b64 v8, v[2:3] offset:2400
	ds_read_b64 v[2:3], v42 offset:800
	ds_read_b64 v[6:7], v8 offset:2000
	v_mov_b32_e32 v12, v1
	v_mov_b32_e32 v13, v11
	s_waitcnt lgkmcnt(0)
	v_pk_add_f32 v[14:15], v[2:3], v[6:7]
	v_pk_add_f32 v[2:3], v[2:3], v[6:7] neg_lo:[0,1] neg_hi:[0,1]
	v_mov_b32_e32 v6, v15
	v_mov_b32_e32 v7, v2
	v_pk_mul_f32 v[6:7], v[6:7], 0.5 op_sel_hi:[1,0]
	s_nop 0
	v_mov_b32_e32 v2, v7
	v_mov_b32_e32 v15, v6
	v_pk_mul_f32 v[2:3], v[0:1], v[2:3]
	s_nop 0
	v_pk_fma_f32 v[16:17], v[14:15], v[12:13], v[2:3]
	v_pk_fma_f32 v[2:3], v[14:15], v[12:13], v[2:3] neg_lo:[0,0,1] neg_hi:[0,0,1]
	v_pk_fma_f32 v[12:13], v[10:11], v[6:7], v[16:17]
	v_pk_fma_f32 v[14:15], v[10:11], v[6:7], v[16:17] op_sel_hi:[0,1,1] neg_lo:[1,0,0] neg_hi:[1,0,0]
	v_mov_b32_e32 v13, v15
	v_pk_fma_f32 v[2:3], v[10:11], v[6:7], v[2:3] op_sel_hi:[0,1,1] neg_lo:[1,0,0] neg_hi:[1,0,0]
	ds_write_b64 v42, v[12:13] offset:800
	ds_write_b64 v8, v[2:3] offset:2000
	s_and_saveexec_b64 s[4:5], s[0:1]
	s_cbranch_execz .LBB0_25
; %bb.24:
	global_load_dwordx2 v[2:3], v[4:5], off offset:1200
	ds_read_b64 v[4:5], v42 offset:1200
	ds_read_b64 v[6:7], v8 offset:1600
	v_mov_b32_e32 v10, v1
	s_waitcnt lgkmcnt(0)
	v_pk_add_f32 v[12:13], v[4:5], v[6:7]
	v_pk_add_f32 v[4:5], v[4:5], v[6:7] neg_lo:[0,1] neg_hi:[0,1]
	v_mov_b32_e32 v6, v13
	v_mov_b32_e32 v7, v4
	v_pk_mul_f32 v[6:7], v[6:7], 0.5 op_sel_hi:[1,0]
	s_waitcnt vmcnt(0)
	v_mov_b32_e32 v0, v3
	v_mov_b32_e32 v4, v7
	v_mov_b32_e32 v13, v6
	v_mov_b32_e32 v11, v3
	v_pk_mul_f32 v[0:1], v[0:1], v[4:5]
	s_nop 0
	v_pk_fma_f32 v[4:5], v[12:13], v[10:11], v[0:1]
	v_pk_fma_f32 v[0:1], v[12:13], v[10:11], v[0:1] neg_lo:[0,0,1] neg_hi:[0,0,1]
	v_pk_fma_f32 v[10:11], v[2:3], v[6:7], v[4:5]
	v_pk_fma_f32 v[4:5], v[2:3], v[6:7], v[4:5] op_sel_hi:[0,1,1] neg_lo:[1,0,0] neg_hi:[1,0,0]
	v_mov_b32_e32 v11, v5
	v_pk_fma_f32 v[0:1], v[2:3], v[6:7], v[0:1] op_sel_hi:[0,1,1] neg_lo:[1,0,0] neg_hi:[1,0,0]
	ds_write_b64 v42, v[10:11] offset:1200
	ds_write_b64 v8, v[0:1] offset:1600
.LBB0_25:
	s_or_b64 exec, exec, s[4:5]
	s_waitcnt lgkmcnt(0)
	; wave barrier
	s_waitcnt lgkmcnt(0)
	s_and_saveexec_b64 s[0:1], vcc
	s_cbranch_execz .LBB0_28
; %bb.26:
	v_mul_lo_u32 v2, s3, v26
	v_mul_lo_u32 v3, s2, v27
	v_mad_u64_u32 v[0:1], s[0:1], s2, v26, 0
	v_lshl_add_u32 v10, v28, 3, 0
	v_add3_u32 v1, v1, v3, v2
	ds_read2_b64 v[2:5], v10 offset1:50
	v_lshl_add_u64 v[0:1], v[0:1], 3, s[6:7]
	v_mov_b32_e32 v29, 0
	v_lshl_add_u64 v[0:1], v[24:25], 3, v[0:1]
	v_lshl_add_u64 v[6:7], v[28:29], 3, v[0:1]
	s_waitcnt lgkmcnt(0)
	global_store_dwordx2 v[6:7], v[2:3], off
	ds_read2_b64 v[6:9], v10 offset0:100 offset1:150
	v_add_u32_e32 v2, 50, v28
	v_mov_b32_e32 v3, v29
	v_lshl_add_u64 v[2:3], v[2:3], 3, v[0:1]
	global_store_dwordx2 v[2:3], v[4:5], off
	v_add_u32_e32 v2, 0x64, v28
	v_mov_b32_e32 v3, v29
	v_lshl_add_u64 v[2:3], v[2:3], 3, v[0:1]
	s_waitcnt lgkmcnt(0)
	global_store_dwordx2 v[2:3], v[6:7], off
	v_add_u32_e32 v2, 0x96, v28
	v_mov_b32_e32 v3, v29
	v_lshl_add_u64 v[6:7], v[2:3], 3, v[0:1]
	ds_read2_b64 v[2:5], v10 offset0:200 offset1:250
	global_store_dwordx2 v[6:7], v[8:9], off
	v_add_u32_e32 v6, 0xc8, v28
	v_mov_b32_e32 v7, v29
	v_lshl_add_u64 v[6:7], v[6:7], 3, v[0:1]
	s_waitcnt lgkmcnt(0)
	global_store_dwordx2 v[6:7], v[2:3], off
	ds_read_b64 v[6:7], v10 offset:2400
	v_add_u32_e32 v2, 0xfa, v28
	v_mov_b32_e32 v3, v29
	v_lshl_add_u64 v[2:3], v[2:3], 3, v[0:1]
	global_store_dwordx2 v[2:3], v[4:5], off
	v_add_u32_e32 v2, 0x12c, v28
	v_mov_b32_e32 v3, v29
	v_lshl_add_u64 v[2:3], v[2:3], 3, v[0:1]
	v_cmp_eq_u32_e32 vcc, 49, v28
	s_waitcnt lgkmcnt(0)
	global_store_dwordx2 v[2:3], v[6:7], off
	s_and_b64 exec, exec, vcc
	s_cbranch_execz .LBB0_28
; %bb.27:
	ds_read_b64 v[2:3], v29 offset:2800
	s_waitcnt lgkmcnt(0)
	global_store_dwordx2 v[0:1], v[2:3], off offset:2800
.LBB0_28:
	s_endpgm
	.section	.rodata,"a",@progbits
	.p2align	6, 0x0
	.amdhsa_kernel fft_rtc_back_len350_factors_5_7_10_wgs_50_tpt_50_sp_op_CI_CI_unitstride_sbrr_R2C_dirReg
		.amdhsa_group_segment_fixed_size 0
		.amdhsa_private_segment_fixed_size 0
		.amdhsa_kernarg_size 104
		.amdhsa_user_sgpr_count 2
		.amdhsa_user_sgpr_dispatch_ptr 0
		.amdhsa_user_sgpr_queue_ptr 0
		.amdhsa_user_sgpr_kernarg_segment_ptr 1
		.amdhsa_user_sgpr_dispatch_id 0
		.amdhsa_user_sgpr_kernarg_preload_length 0
		.amdhsa_user_sgpr_kernarg_preload_offset 0
		.amdhsa_user_sgpr_private_segment_size 0
		.amdhsa_uses_dynamic_stack 0
		.amdhsa_enable_private_segment 0
		.amdhsa_system_sgpr_workgroup_id_x 1
		.amdhsa_system_sgpr_workgroup_id_y 0
		.amdhsa_system_sgpr_workgroup_id_z 0
		.amdhsa_system_sgpr_workgroup_info 0
		.amdhsa_system_vgpr_workitem_id 0
		.amdhsa_next_free_vgpr 60
		.amdhsa_next_free_sgpr 28
		.amdhsa_accum_offset 60
		.amdhsa_reserve_vcc 1
		.amdhsa_float_round_mode_32 0
		.amdhsa_float_round_mode_16_64 0
		.amdhsa_float_denorm_mode_32 3
		.amdhsa_float_denorm_mode_16_64 3
		.amdhsa_dx10_clamp 1
		.amdhsa_ieee_mode 1
		.amdhsa_fp16_overflow 0
		.amdhsa_tg_split 0
		.amdhsa_exception_fp_ieee_invalid_op 0
		.amdhsa_exception_fp_denorm_src 0
		.amdhsa_exception_fp_ieee_div_zero 0
		.amdhsa_exception_fp_ieee_overflow 0
		.amdhsa_exception_fp_ieee_underflow 0
		.amdhsa_exception_fp_ieee_inexact 0
		.amdhsa_exception_int_div_zero 0
	.end_amdhsa_kernel
	.text
.Lfunc_end0:
	.size	fft_rtc_back_len350_factors_5_7_10_wgs_50_tpt_50_sp_op_CI_CI_unitstride_sbrr_R2C_dirReg, .Lfunc_end0-fft_rtc_back_len350_factors_5_7_10_wgs_50_tpt_50_sp_op_CI_CI_unitstride_sbrr_R2C_dirReg
                                        ; -- End function
	.section	.AMDGPU.csdata,"",@progbits
; Kernel info:
; codeLenInByte = 5780
; NumSgprs: 34
; NumVgprs: 60
; NumAgprs: 0
; TotalNumVgprs: 60
; ScratchSize: 0
; MemoryBound: 0
; FloatMode: 240
; IeeeMode: 1
; LDSByteSize: 0 bytes/workgroup (compile time only)
; SGPRBlocks: 4
; VGPRBlocks: 7
; NumSGPRsForWavesPerEU: 34
; NumVGPRsForWavesPerEU: 60
; AccumOffset: 60
; Occupancy: 8
; WaveLimiterHint : 1
; COMPUTE_PGM_RSRC2:SCRATCH_EN: 0
; COMPUTE_PGM_RSRC2:USER_SGPR: 2
; COMPUTE_PGM_RSRC2:TRAP_HANDLER: 0
; COMPUTE_PGM_RSRC2:TGID_X_EN: 1
; COMPUTE_PGM_RSRC2:TGID_Y_EN: 0
; COMPUTE_PGM_RSRC2:TGID_Z_EN: 0
; COMPUTE_PGM_RSRC2:TIDIG_COMP_CNT: 0
; COMPUTE_PGM_RSRC3_GFX90A:ACCUM_OFFSET: 14
; COMPUTE_PGM_RSRC3_GFX90A:TG_SPLIT: 0
	.text
	.p2alignl 6, 3212836864
	.fill 256, 4, 3212836864
	.type	__hip_cuid_54aeac9a4e8eb44b,@object ; @__hip_cuid_54aeac9a4e8eb44b
	.section	.bss,"aw",@nobits
	.globl	__hip_cuid_54aeac9a4e8eb44b
__hip_cuid_54aeac9a4e8eb44b:
	.byte	0                               ; 0x0
	.size	__hip_cuid_54aeac9a4e8eb44b, 1

	.ident	"AMD clang version 19.0.0git (https://github.com/RadeonOpenCompute/llvm-project roc-6.4.0 25133 c7fe45cf4b819c5991fe208aaa96edf142730f1d)"
	.section	".note.GNU-stack","",@progbits
	.addrsig
	.addrsig_sym __hip_cuid_54aeac9a4e8eb44b
	.amdgpu_metadata
---
amdhsa.kernels:
  - .agpr_count:     0
    .args:
      - .actual_access:  read_only
        .address_space:  global
        .offset:         0
        .size:           8
        .value_kind:     global_buffer
      - .offset:         8
        .size:           8
        .value_kind:     by_value
      - .actual_access:  read_only
        .address_space:  global
        .offset:         16
        .size:           8
        .value_kind:     global_buffer
      - .actual_access:  read_only
        .address_space:  global
        .offset:         24
        .size:           8
        .value_kind:     global_buffer
      - .actual_access:  read_only
        .address_space:  global
        .offset:         32
        .size:           8
        .value_kind:     global_buffer
      - .offset:         40
        .size:           8
        .value_kind:     by_value
      - .actual_access:  read_only
        .address_space:  global
        .offset:         48
        .size:           8
        .value_kind:     global_buffer
      - .actual_access:  read_only
        .address_space:  global
        .offset:         56
        .size:           8
        .value_kind:     global_buffer
      - .offset:         64
        .size:           4
        .value_kind:     by_value
      - .actual_access:  read_only
        .address_space:  global
        .offset:         72
        .size:           8
        .value_kind:     global_buffer
      - .actual_access:  read_only
        .address_space:  global
        .offset:         80
        .size:           8
        .value_kind:     global_buffer
      - .actual_access:  read_only
        .address_space:  global
        .offset:         88
        .size:           8
        .value_kind:     global_buffer
      - .actual_access:  write_only
        .address_space:  global
        .offset:         96
        .size:           8
        .value_kind:     global_buffer
    .group_segment_fixed_size: 0
    .kernarg_segment_align: 8
    .kernarg_segment_size: 104
    .language:       OpenCL C
    .language_version:
      - 2
      - 0
    .max_flat_workgroup_size: 50
    .name:           fft_rtc_back_len350_factors_5_7_10_wgs_50_tpt_50_sp_op_CI_CI_unitstride_sbrr_R2C_dirReg
    .private_segment_fixed_size: 0
    .sgpr_count:     34
    .sgpr_spill_count: 0
    .symbol:         fft_rtc_back_len350_factors_5_7_10_wgs_50_tpt_50_sp_op_CI_CI_unitstride_sbrr_R2C_dirReg.kd
    .uniform_work_group_size: 1
    .uses_dynamic_stack: false
    .vgpr_count:     60
    .vgpr_spill_count: 0
    .wavefront_size: 64
amdhsa.target:   amdgcn-amd-amdhsa--gfx950
amdhsa.version:
  - 1
  - 2
...

	.end_amdgpu_metadata
